;; amdgpu-corpus repo=ROCm/bitsandbytes kind=harvested arch=n/a opt=n/a
	.text
	.amdgcn_target "amdgcn-amd-amdhsa--gfx1100"
	.amdhsa_code_object_version 6
	.protected	_Z33kPreconditionOptimizer32bit1StateI6__halfLi1ELi4096ELi8EEvPT_S2_PfS3_ffffiffi ; -- Begin function _Z33kPreconditionOptimizer32bit1StateI6__halfLi1ELi4096ELi8EEvPT_S2_PfS3_ffffiffi
	.globl	_Z33kPreconditionOptimizer32bit1StateI6__halfLi1ELi4096ELi8EEvPT_S2_PfS3_ffffiffi
	.p2align	8
	.type	_Z33kPreconditionOptimizer32bit1StateI6__halfLi1ELi4096ELi8EEvPT_S2_PfS3_ffffiffi,@function
_Z33kPreconditionOptimizer32bit1StateI6__halfLi1ELi4096ELi8EEvPT_S2_PfS3_ffffiffi: ; @_Z33kPreconditionOptimizer32bit1StateI6__halfLi1ELi4096ELi8EEvPT_S2_PfS3_ffffiffi
; %bb.0:
	s_clause 0x1
	s_load_b64 s[16:17], s[0:1], 0x38
	s_load_b32 s4, s[0:1], 0x4c
	s_mov_b32 s19, 0
	s_waitcnt lgkmcnt(0)
	s_ashr_i32 s2, s17, 31
	s_and_b32 s3, s17, 0xfff
	s_lshr_b32 s2, s2, 20
	s_delay_alu instid0(SALU_CYCLE_1) | instskip(NEXT) | instid1(SALU_CYCLE_1)
	s_add_i32 s2, s17, s2
	s_and_b32 s2, s2, 0xfffff000
	s_cmp_lg_u32 s3, 0
	s_cselect_b32 s3, -1, 0
	s_delay_alu instid0(SALU_CYCLE_1) | instskip(NEXT) | instid1(VALU_DEP_1)
	v_cndmask_b32_e64 v1, 0, 1, s3
	v_readfirstlane_b32 s3, v1
	s_delay_alu instid0(VALU_DEP_1) | instskip(NEXT) | instid1(SALU_CYCLE_1)
	s_lshl_b32 s20, s3, 12
	s_add_i32 s20, s20, s2
	s_add_u32 s2, s0, 64
	s_addc_u32 s3, s1, 0
	s_and_b32 s4, s4, 0xffff
	s_delay_alu instid0(SALU_CYCLE_1) | instskip(NEXT) | instid1(SALU_CYCLE_1)
	s_mul_i32 s15, s15, s4
	s_lshl_b32 s18, s15, 3
	s_delay_alu instid0(SALU_CYCLE_1)
	s_cmp_ge_u32 s18, s20
	s_cbranch_scc1 .LBB38_46
; %bb.1:
	s_clause 0x3
	s_load_b64 s[4:5], s[0:1], 0x0
	s_load_b128 s[12:15], s[0:1], 0x10
	s_load_b32 s21, s[0:1], 0x20
	s_load_b32 s0, s[0:1], 0x30
	v_lshlrev_b32_e32 v1, 3, v0
	v_mbcnt_lo_u32_b32 v2, -1, 0
	v_and_b32_e32 v30, 0x1e0, v0
	s_load_b32 s3, s[2:3], 0x0
	s_delay_alu instid0(VALU_DEP_3) | instskip(NEXT) | instid1(VALU_DEP_3)
	v_and_b32_e32 v1, 0xf00, v1
	v_lshlrev_b32_e32 v3, 1, v2
	v_lshlrev_b32_e32 v35, 2, v2
	v_or_b32_e32 v12, v2, v30
	v_add_nc_u32_e32 v49, 1, v2
	v_lshlrev_b32_e32 v4, 1, v1
	v_or_b32_e32 v16, v2, v1
	v_lshrrev_b32_e32 v5, 5, v1
	v_lshlrev_b32_e32 v1, 2, v1
	v_add_nc_u32_e32 v51, 2, v2
	v_add_nc_u32_e32 v53, 4, v2
	v_or_b32_e32 v18, 64, v16
	v_or_b32_e32 v19, 0x60, v16
	s_waitcnt lgkmcnt(0)
	v_add_co_u32 v3, s1, s4, v3
	s_delay_alu instid0(VALU_DEP_1) | instskip(SKIP_1) | instid1(VALU_DEP_3)
	v_add_co_ci_u32_e64 v6, null, s5, 0, s1
	v_add_co_u32 v14, s1, s12, v35
	v_add_co_u32 v22, vcc_lo, v3, v4
	v_add_co_ci_u32_e64 v15, null, s13, 0, s1
	s_delay_alu instid0(VALU_DEP_4) | instskip(NEXT) | instid1(VALU_DEP_4)
	v_add_co_ci_u32_e32 v23, vcc_lo, 0, v6, vcc_lo
	v_add_co_u32 v37, vcc_lo, v14, v1
	s_delay_alu instid0(VALU_DEP_3)
	v_add_co_ci_u32_e32 v38, vcc_lo, 0, v15, vcc_lo
	v_cmp_ne_u32_e32 vcc_lo, 31, v2
	v_lshrrev_b32_e32 v3, 5, v18
	v_lshrrev_b32_e32 v4, 5, v19
	v_add_nc_u32_e32 v5, v5, v16
	v_or_b32_e32 v17, 32, v16
	v_add_co_ci_u32_e32 v1, vcc_lo, 0, v2, vcc_lo
	v_add_nc_u32_e32 v3, v3, v18
	v_cmp_gt_u32_e32 vcc_lo, 30, v2
	v_and_b32_e32 v8, 0x7a, v4
	s_delay_alu instid0(VALU_DEP_4)
	v_lshlrev_b32_e32 v48, 2, v1
	v_add_lshl_u32 v42, v4, v19, 2
	v_lshlrev_b32_e32 v28, 1, v3
	v_lshlrev_b32_e32 v41, 2, v3
	v_cndmask_b32_e64 v3, 0, 1, vcc_lo
	v_cmp_gt_u32_e32 vcc_lo, 28, v2
	v_lshlrev_b32_e32 v26, 1, v5
	v_lshlrev_b32_e32 v39, 2, v5
	v_lshrrev_b32_e32 v7, 5, v17
	v_lshlrev_b32_e32 v3, 1, v3
	v_cndmask_b32_e64 v1, 0, 1, vcc_lo
	v_cmp_gt_u32_e32 vcc_lo, 24, v2
	v_or_b32_e32 v20, 0x80, v16
	v_or_b32_e32 v21, 0xa0, v16
	v_add_lshl_u32 v50, v3, v2, 2
	v_lshlrev_b32_e32 v1, 2, v1
	v_cndmask_b32_e64 v4, 0, 1, vcc_lo
	v_cmp_gt_u32_e32 vcc_lo, 16, v2
	v_and_b32_e32 v6, 0x78, v7
	v_or_b32_e32 v25, 0xe0, v16
	v_add_lshl_u32 v52, v1, v2, 2
	v_lshlrev_b32_e32 v3, 3, v4
	v_cndmask_b32_e64 v5, 0, 1, vcc_lo
	v_add_lshl_u32 v27, v6, v17, 1
	v_add_lshl_u32 v29, v8, v19, 1
	v_lshrrev_b32_e32 v6, 5, v20
	v_add_lshl_u32 v54, v3, v2, 2
	v_lshlrev_b32_e32 v1, 4, v5
	v_lshrrev_b32_e32 v3, 3, v0
	v_lshrrev_b32_e32 v8, 5, v21
	v_or_b32_e32 v24, 0xc0, v16
	v_lshrrev_b32_e32 v10, 5, v25
	v_add_lshl_u32 v56, v1, v2, 2
	v_and_b32_e32 v1, 15, v2
	v_and_b32_e32 v58, 60, v3
	v_add_nc_u32_e32 v6, v6, v20
	v_and_b32_e32 v11, 0x7c, v8
	v_lshrrev_b32_e32 v9, 5, v24
	v_cmp_ne_u32_e64 s1, 15, v1
	v_and_b32_e32 v13, 0x7e, v10
	v_lshlrev_b32_e32 v31, 1, v6
	v_add_lshl_u32 v32, v11, v21, 1
	v_bfe_u32 v11, v12, 2, 27
	v_add_co_ci_u32_e64 v3, s1, 0, v2, s1
	v_cmp_gt_u32_e64 s1, 14, v1
	v_lshlrev_b32_e32 v43, 2, v6
	v_add_nc_u32_e32 v9, v9, v24
	v_add_lshl_u32 v34, v13, v25, 1
	v_lshlrev_b32_e32 v12, 3, v12
	v_cndmask_b32_e64 v4, 0, 1, s1
	v_cmp_gt_u32_e64 s1, 12, v1
	v_and_b32_e32 v13, 0x7e, v11
	v_lshlrev_b32_e32 v60, 2, v3
	v_lshlrev_b32_e32 v33, 1, v9
	;; [unrolled: 1-line block ×3, first 2 shown]
	v_cndmask_b32_e64 v5, 0, 1, s1
	v_cmp_gt_u32_e64 s1, 8, v1
	v_add_lshl_u32 v36, v13, v12, 1
	v_add_lshl_u32 v40, v7, v17, 2
	;; [unrolled: 1-line block ×3, first 2 shown]
	v_lshlrev_b32_e32 v3, 2, v5
	v_cndmask_b32_e64 v6, 0, 1, s1
	v_lshlrev_b32_e32 v45, 2, v9
	v_add_lshl_u32 v46, v10, v25, 2
	v_add_lshl_u32 v47, v11, v12, 2
	s_cmp_eq_u32 s0, 1
	v_lshlrev_b32_e32 v5, 3, v6
	v_add_nc_u32_e32 v55, 8, v2
	v_add_nc_u32_e32 v57, 16, v2
	v_cmp_eq_u32_e32 vcc_lo, 0, v2
	v_cmp_gt_u32_e64 s0, 16, v0
	v_add_nc_u32_e32 v59, 1, v1
	v_add_nc_u32_e32 v61, 2, v1
	v_add_lshl_u32 v62, v4, v2, 2
	v_add_nc_u32_e32 v63, 4, v1
	v_add_lshl_u32 v64, v3, v2, 2
	v_add_nc_u32_e32 v65, 8, v1
	v_mov_b32_e32 v1, 0
	v_add_lshl_u32 v66, v5, v2, 2
	v_cmp_eq_u32_e64 s1, 0, v0
	s_cselect_b32 s2, -1, 0
	s_lshl_b32 s12, s3, 12
	s_branch .LBB38_3
.LBB38_2:                               ;   in Loop: Header=BB38_3 Depth=1
	s_or_b32 exec_lo, exec_lo, s4
	s_add_i32 s18, s18, s12
	s_delay_alu instid0(SALU_CYCLE_1)
	s_cmp_ge_u32 s18, s20
	s_cbranch_scc1 .LBB38_46
.LBB38_3:                               ; =>This Loop Header: Depth=1
                                        ;     Child Loop BB38_34 Depth 2
                                        ;     Child Loop BB38_37 Depth 2
	s_sub_i32 s3, s17, s18
	s_lshl_b64 s[4:5], s[18:19], 1
	s_min_u32 s13, s3, 0x1000
	v_add_co_u32 v2, s3, v22, s4
	s_delay_alu instid0(VALU_DEP_1)
	v_add_co_ci_u32_e64 v3, s3, s5, v23, s3
	v_cmp_gt_u32_e64 s10, s13, v16
	v_mov_b32_e32 v4, 0
	s_barrier
	buffer_gl0_inv
	s_and_saveexec_b32 s3, s10
	s_cbranch_execz .LBB38_5
; %bb.4:                                ;   in Loop: Header=BB38_3 Depth=1
	global_load_u16 v4, v[2:3], off
.LBB38_5:                               ;   in Loop: Header=BB38_3 Depth=1
	s_or_b32 exec_lo, exec_lo, s3
	v_cmp_gt_u32_e64 s8, s13, v17
	v_dual_mov_b32 v5, 0 :: v_dual_mov_b32 v6, 0
	s_delay_alu instid0(VALU_DEP_2)
	s_and_saveexec_b32 s3, s8
	s_cbranch_execz .LBB38_7
; %bb.6:                                ;   in Loop: Header=BB38_3 Depth=1
	global_load_u16 v6, v[2:3], off offset:64
.LBB38_7:                               ;   in Loop: Header=BB38_3 Depth=1
	s_or_b32 exec_lo, exec_lo, s3
	v_cmp_gt_u32_e64 s9, s13, v18
	s_delay_alu instid0(VALU_DEP_1)
	s_and_saveexec_b32 s3, s9
	s_cbranch_execz .LBB38_9
; %bb.8:                                ;   in Loop: Header=BB38_3 Depth=1
	global_load_u16 v5, v[2:3], off offset:128
.LBB38_9:                               ;   in Loop: Header=BB38_3 Depth=1
	s_or_b32 exec_lo, exec_lo, s3
	v_cmp_gt_u32_e64 s6, s13, v19
	v_dual_mov_b32 v7, 0 :: v_dual_mov_b32 v8, 0
	s_delay_alu instid0(VALU_DEP_2)
	s_and_saveexec_b32 s3, s6
	s_cbranch_execz .LBB38_11
; %bb.10:                               ;   in Loop: Header=BB38_3 Depth=1
	global_load_u16 v8, v[2:3], off offset:192
.LBB38_11:                              ;   in Loop: Header=BB38_3 Depth=1
	s_or_b32 exec_lo, exec_lo, s3
	v_cmp_gt_u32_e64 s7, s13, v20
	s_delay_alu instid0(VALU_DEP_1)
	s_and_saveexec_b32 s3, s7
	s_cbranch_execz .LBB38_13
; %bb.12:                               ;   in Loop: Header=BB38_3 Depth=1
	global_load_u16 v7, v[2:3], off offset:256
.LBB38_13:                              ;   in Loop: Header=BB38_3 Depth=1
	s_or_b32 exec_lo, exec_lo, s3
	v_cmp_gt_u32_e64 s4, s13, v21
	v_dual_mov_b32 v9, 0 :: v_dual_mov_b32 v10, 0
	s_delay_alu instid0(VALU_DEP_2)
	s_and_saveexec_b32 s3, s4
	s_cbranch_execz .LBB38_15
; %bb.14:                               ;   in Loop: Header=BB38_3 Depth=1
	global_load_u16 v10, v[2:3], off offset:320
.LBB38_15:                              ;   in Loop: Header=BB38_3 Depth=1
	s_or_b32 exec_lo, exec_lo, s3
	v_cmp_gt_u32_e64 s5, s13, v24
	s_delay_alu instid0(VALU_DEP_1)
	s_and_saveexec_b32 s3, s5
	s_cbranch_execz .LBB38_17
; %bb.16:                               ;   in Loop: Header=BB38_3 Depth=1
	global_load_u16 v9, v[2:3], off offset:384
.LBB38_17:                              ;   in Loop: Header=BB38_3 Depth=1
	s_or_b32 exec_lo, exec_lo, s3
	v_cmp_gt_u32_e64 s3, s13, v25
	v_dual_mov_b32 v0, 0 :: v_dual_mov_b32 v11, 0
	s_delay_alu instid0(VALU_DEP_2)
	s_and_saveexec_b32 s11, s3
	s_cbranch_execz .LBB38_19
; %bb.18:                               ;   in Loop: Header=BB38_3 Depth=1
	global_load_u16 v11, v[2:3], off offset:448
.LBB38_19:                              ;   in Loop: Header=BB38_3 Depth=1
	s_or_b32 exec_lo, exec_lo, s11
	s_waitcnt vmcnt(0)
	ds_store_b16 v26, v4
	ds_store_b16 v27, v6
	;; [unrolled: 1-line block ×8, first 2 shown]
	; wave barrier
	ds_load_b128 v[10:13], v36
	s_lshl_b64 s[22:23], s[18:19], 2
	s_mov_b32 s24, s19
	s_mov_b32 s25, s19
	;; [unrolled: 1-line block ×8, first 2 shown]
	v_add_co_u32 v14, s11, v37, s22
	v_dual_mov_b32 v2, s24 :: v_dual_mov_b32 v3, s25
	v_add_co_ci_u32_e64 v15, s11, s23, v38, s11
	v_dual_mov_b32 v4, s26 :: v_dual_mov_b32 v5, s27
	v_dual_mov_b32 v6, s28 :: v_dual_mov_b32 v7, s29
	v_dual_mov_b32 v8, s30 :: v_dual_mov_b32 v9, s31
	s_waitcnt lgkmcnt(0)
	s_barrier
	buffer_gl0_inv
	s_and_saveexec_b32 s11, s10
	s_cbranch_execnz .LBB38_39
; %bb.20:                               ;   in Loop: Header=BB38_3 Depth=1
	s_or_b32 exec_lo, exec_lo, s11
	s_and_saveexec_b32 s10, s8
	s_cbranch_execnz .LBB38_40
.LBB38_21:                              ;   in Loop: Header=BB38_3 Depth=1
	s_or_b32 exec_lo, exec_lo, s10
	s_and_saveexec_b32 s8, s9
	s_cbranch_execnz .LBB38_41
.LBB38_22:                              ;   in Loop: Header=BB38_3 Depth=1
	s_or_b32 exec_lo, exec_lo, s8
	s_and_saveexec_b32 s8, s6
	s_cbranch_execnz .LBB38_42
.LBB38_23:                              ;   in Loop: Header=BB38_3 Depth=1
	s_or_b32 exec_lo, exec_lo, s8
	s_and_saveexec_b32 s6, s7
	s_cbranch_execnz .LBB38_43
.LBB38_24:                              ;   in Loop: Header=BB38_3 Depth=1
	s_or_b32 exec_lo, exec_lo, s6
	s_and_saveexec_b32 s6, s4
	s_cbranch_execnz .LBB38_44
.LBB38_25:                              ;   in Loop: Header=BB38_3 Depth=1
	s_or_b32 exec_lo, exec_lo, s6
	s_and_saveexec_b32 s4, s5
	s_cbranch_execnz .LBB38_45
.LBB38_26:                              ;   in Loop: Header=BB38_3 Depth=1
	s_or_b32 exec_lo, exec_lo, s4
	s_and_saveexec_b32 s4, s3
	s_cbranch_execz .LBB38_28
.LBB38_27:                              ;   in Loop: Header=BB38_3 Depth=1
	global_load_b32 v9, v[14:15], off offset:896
.LBB38_28:                              ;   in Loop: Header=BB38_3 Depth=1
	s_or_b32 exec_lo, exec_lo, s4
	ds_store_b32 v39, v0
	s_waitcnt vmcnt(0)
	ds_store_b32 v40, v3
	ds_store_b32 v41, v4
	;; [unrolled: 1-line block ×7, first 2 shown]
	; wave barrier
	ds_load_2addr_b32 v[2:3], v47 offset1:1
	ds_load_2addr_b32 v[4:5], v47 offset0:2 offset1:3
	v_fma_mixlo_f16 v0, v10, s16, 0 op_sel:[1,0,0] op_sel_hi:[1,0,0]
	v_fma_mixlo_f16 v10, v10, s16, 0 op_sel_hi:[1,0,0]
	ds_load_2addr_b32 v[6:7], v47 offset0:4 offset1:5
	ds_load_2addr_b32 v[8:9], v47 offset0:6 offset1:7
	s_waitcnt lgkmcnt(0)
	s_barrier
	v_cvt_f32_f16_e32 v14, v0
	v_cvt_f32_f16_e32 v15, v10
	buffer_gl0_inv
	v_fma_mix_f32 v0, v3, s21, v0 op_sel_hi:[0,0,1]
	v_fma_mixlo_f16 v3, v11, s16, 0 op_sel_hi:[1,0,0]
	v_fma_mix_f32 v2, v2, s21, v10 op_sel_hi:[0,0,1]
	s_delay_alu instid0(VALU_DEP_3) | instskip(NEXT) | instid1(VALU_DEP_3)
	v_cndmask_b32_e64 v0, v0, v14, s2
	v_cvt_f32_f16_e32 v10, v3
	v_fma_mix_f32 v3, v4, s21, v3 op_sel_hi:[0,0,1]
	v_fma_mixlo_f16 v4, v11, s16, 0 op_sel:[1,0,0] op_sel_hi:[1,0,0]
	v_cndmask_b32_e64 v2, v2, v15, s2
	v_mul_f32_e32 v0, v0, v0
	v_fma_mixlo_f16 v11, v12, s16, 0 op_sel_hi:[1,0,0]
	v_cndmask_b32_e64 v3, v3, v10, s2
	v_cvt_f32_f16_e32 v10, v4
	v_fma_mix_f32 v4, v5, s21, v4 op_sel_hi:[0,0,1]
	v_fmac_f32_e32 v0, v2, v2
	v_cvt_f32_f16_e32 v2, v11
	v_fma_mix_f32 v5, v6, s21, v11 op_sel_hi:[0,0,1]
	v_fma_mixlo_f16 v6, v12, s16, 0 op_sel:[1,0,0] op_sel_hi:[1,0,0]
	v_cndmask_b32_e64 v4, v4, v10, s2
	v_fmac_f32_e32 v0, v3, v3
	v_fma_mixlo_f16 v3, v13, s16, 0 op_sel_hi:[1,0,0]
	v_cndmask_b32_e64 v2, v5, v2, s2
	v_cvt_f32_f16_e32 v5, v6
	v_fma_mix_f32 v6, v7, s21, v6 op_sel_hi:[0,0,1]
	v_fmac_f32_e32 v0, v4, v4
	v_cvt_f32_f16_e32 v4, v3
	v_fma_mix_f32 v3, v8, s21, v3 op_sel_hi:[0,0,1]
	v_fma_mixlo_f16 v7, v13, s16, 0 op_sel:[1,0,0] op_sel_hi:[1,0,0]
	v_cndmask_b32_e64 v5, v6, v5, s2
	v_fmac_f32_e32 v0, v2, v2
	s_delay_alu instid0(VALU_DEP_4) | instskip(NEXT) | instid1(VALU_DEP_4)
	v_cndmask_b32_e64 v2, v3, v4, s2
	v_cvt_f32_f16_e32 v3, v7
	v_fma_mix_f32 v4, v9, s21, v7 op_sel_hi:[0,0,1]
	s_delay_alu instid0(VALU_DEP_4) | instskip(NEXT) | instid1(VALU_DEP_2)
	v_fmac_f32_e32 v0, v5, v5
	v_cndmask_b32_e64 v3, v4, v3, s2
	s_delay_alu instid0(VALU_DEP_2) | instskip(NEXT) | instid1(VALU_DEP_1)
	v_fmac_f32_e32 v0, v2, v2
	v_fmac_f32_e32 v0, v3, v3
	v_sub_nc_u32_e64 v3, s13, v30 clamp
	ds_bpermute_b32 v2, v48, v0
	v_cmp_lt_u32_e64 s3, v49, v3
	s_waitcnt lgkmcnt(0)
	v_add_f32_e32 v2, v0, v2
	s_delay_alu instid0(VALU_DEP_1) | instskip(SKIP_4) | instid1(VALU_DEP_1)
	v_cndmask_b32_e64 v0, v0, v2, s3
	v_cmp_lt_u32_e64 s3, v51, v3
	ds_bpermute_b32 v2, v50, v0
	s_waitcnt lgkmcnt(0)
	v_add_f32_e32 v2, v0, v2
	v_cndmask_b32_e64 v0, v0, v2, s3
	v_cmp_lt_u32_e64 s3, v53, v3
	ds_bpermute_b32 v2, v52, v0
	s_waitcnt lgkmcnt(0)
	v_add_f32_e32 v2, v0, v2
	s_delay_alu instid0(VALU_DEP_1) | instskip(SKIP_4) | instid1(VALU_DEP_1)
	v_cndmask_b32_e64 v0, v0, v2, s3
	v_cmp_lt_u32_e64 s3, v55, v3
	ds_bpermute_b32 v2, v54, v0
	s_waitcnt lgkmcnt(0)
	v_add_f32_e32 v2, v0, v2
	v_cndmask_b32_e64 v0, v0, v2, s3
	v_cmp_lt_u32_e64 s3, v57, v3
	ds_bpermute_b32 v2, v56, v0
	s_waitcnt lgkmcnt(0)
	v_add_f32_e32 v2, v0, v2
	s_delay_alu instid0(VALU_DEP_1)
	v_cndmask_b32_e64 v0, v0, v2, s3
	s_and_saveexec_b32 s3, vcc_lo
	s_cbranch_execz .LBB38_30
; %bb.29:                               ;   in Loop: Header=BB38_3 Depth=1
	ds_store_b32 v58, v0
.LBB38_30:                              ;   in Loop: Header=BB38_3 Depth=1
	s_or_b32 exec_lo, exec_lo, s3
	s_waitcnt lgkmcnt(0)
	s_barrier
	buffer_gl0_inv
	s_and_saveexec_b32 s5, s0
	s_cbranch_execz .LBB38_32
; %bb.31:                               ;   in Loop: Header=BB38_3 Depth=1
	ds_load_b32 v0, v35
	s_add_i32 s13, s13, 31
	s_delay_alu instid0(SALU_CYCLE_1) | instskip(NEXT) | instid1(SALU_CYCLE_1)
	s_lshr_b32 s6, s13, 5
	v_cmp_gt_u32_e64 s3, s6, v59
	v_cmp_gt_u32_e64 s4, s6, v61
	s_waitcnt lgkmcnt(0)
	ds_bpermute_b32 v2, v60, v0
	s_waitcnt lgkmcnt(0)
	v_add_f32_e32 v2, v0, v2
	s_delay_alu instid0(VALU_DEP_1) | instskip(SKIP_3) | instid1(VALU_DEP_1)
	v_cndmask_b32_e64 v2, v0, v2, s3
	ds_bpermute_b32 v3, v62, v2
	s_waitcnt lgkmcnt(0)
	v_add_f32_e32 v3, v2, v3
	v_cndmask_b32_e64 v2, v2, v3, s4
	v_cmp_gt_u32_e64 s4, s6, v63
	ds_bpermute_b32 v3, v64, v2
	s_waitcnt lgkmcnt(0)
	v_add_f32_e32 v3, v2, v3
	s_delay_alu instid0(VALU_DEP_1) | instskip(SKIP_4) | instid1(VALU_DEP_1)
	v_cndmask_b32_e64 v2, v2, v3, s4
	v_cmp_gt_u32_e64 s4, s6, v65
	ds_bpermute_b32 v3, v66, v2
	s_waitcnt lgkmcnt(0)
	v_add_f32_e32 v3, v2, v3
	v_cndmask_b32_e64 v2, v2, v3, s4
	s_delay_alu instid0(VALU_DEP_1)
	v_cndmask_b32_e64 v0, v0, v2, s3
.LBB38_32:                              ;   in Loop: Header=BB38_3 Depth=1
	s_or_b32 exec_lo, exec_lo, s5
	s_and_saveexec_b32 s4, s1
	s_cbranch_execz .LBB38_2
; %bb.33:                               ;   in Loop: Header=BB38_3 Depth=1
	v_bfrev_b32_e32 v4, 1
	s_mov_b32 s3, exec_lo
.LBB38_34:                              ;   Parent Loop BB38_3 Depth=1
                                        ; =>  This Inner Loop Header: Depth=2
	s_delay_alu instid0(SALU_CYCLE_1) | instskip(NEXT) | instid1(SALU_CYCLE_1)
	s_ctz_i32_b32 s5, s3
	v_readlane_b32 s6, v0, s5
	s_lshl_b32 s5, 1, s5
	s_delay_alu instid0(SALU_CYCLE_1) | instskip(NEXT) | instid1(SALU_CYCLE_1)
	s_and_not1_b32 s3, s3, s5
	s_cmp_lg_u32 s3, 0
	s_delay_alu instid0(VALU_DEP_1)
	v_add_f32_e32 v4, s6, v4
	s_cbranch_scc1 .LBB38_34
; %bb.35:                               ;   in Loop: Header=BB38_3 Depth=1
	v_mbcnt_lo_u32_b32 v0, exec_lo, 0
	s_mov_b32 s5, exec_lo
	s_delay_alu instid0(VALU_DEP_1)
	v_cmpx_eq_u32_e32 0, v0
	s_xor_b32 s5, exec_lo, s5
	s_cbranch_execz .LBB38_2
; %bb.36:                               ;   in Loop: Header=BB38_3 Depth=1
	global_load_b32 v3, v1, s[14:15]
	s_mov_b32 s5, 0
.LBB38_37:                              ;   Parent Loop BB38_3 Depth=1
                                        ; =>  This Inner Loop Header: Depth=2
	s_waitcnt vmcnt(0)
	v_add_f32_e32 v2, v3, v4
	global_atomic_cmpswap_b32 v0, v1, v[2:3], s[14:15] glc
	s_waitcnt vmcnt(0)
	v_cmp_eq_u32_e64 s3, v0, v3
	v_mov_b32_e32 v3, v0
	s_delay_alu instid0(VALU_DEP_2) | instskip(NEXT) | instid1(SALU_CYCLE_1)
	s_or_b32 s5, s3, s5
	s_and_not1_b32 exec_lo, exec_lo, s5
	s_cbranch_execnz .LBB38_37
; %bb.38:                               ;   in Loop: Header=BB38_3 Depth=1
	s_or_b32 exec_lo, exec_lo, s5
	s_branch .LBB38_2
.LBB38_39:                              ;   in Loop: Header=BB38_3 Depth=1
	global_load_b32 v0, v[14:15], off
	v_mov_b32_e32 v7, v1
	v_mov_b32_e32 v2, v1
	;; [unrolled: 1-line block ×6, first 2 shown]
	s_waitcnt vmcnt(0)
	v_mov_b32_e32 v9, v7
	s_delay_alu instid0(VALU_DEP_2)
	v_dual_mov_b32 v8, v6 :: v_dual_mov_b32 v7, v5
	v_mov_b32_e32 v6, v4
	v_mov_b32_e32 v5, v3
	;; [unrolled: 1-line block ×5, first 2 shown]
	s_or_b32 exec_lo, exec_lo, s11
	s_and_saveexec_b32 s10, s8
	s_cbranch_execz .LBB38_21
.LBB38_40:                              ;   in Loop: Header=BB38_3 Depth=1
	global_load_b32 v3, v[14:15], off offset:128
	s_or_b32 exec_lo, exec_lo, s10
	s_and_saveexec_b32 s8, s9
	s_cbranch_execz .LBB38_22
.LBB38_41:                              ;   in Loop: Header=BB38_3 Depth=1
	global_load_b32 v4, v[14:15], off offset:256
	s_or_b32 exec_lo, exec_lo, s8
	s_and_saveexec_b32 s8, s6
	s_cbranch_execz .LBB38_23
.LBB38_42:                              ;   in Loop: Header=BB38_3 Depth=1
	global_load_b32 v5, v[14:15], off offset:384
	s_or_b32 exec_lo, exec_lo, s8
	s_and_saveexec_b32 s6, s7
	s_cbranch_execz .LBB38_24
.LBB38_43:                              ;   in Loop: Header=BB38_3 Depth=1
	global_load_b32 v6, v[14:15], off offset:512
	s_or_b32 exec_lo, exec_lo, s6
	s_and_saveexec_b32 s6, s4
	s_cbranch_execz .LBB38_25
.LBB38_44:                              ;   in Loop: Header=BB38_3 Depth=1
	global_load_b32 v7, v[14:15], off offset:640
	s_or_b32 exec_lo, exec_lo, s6
	s_and_saveexec_b32 s4, s5
	s_cbranch_execz .LBB38_26
.LBB38_45:                              ;   in Loop: Header=BB38_3 Depth=1
	global_load_b32 v8, v[14:15], off offset:768
	s_or_b32 exec_lo, exec_lo, s4
	s_and_saveexec_b32 s4, s3
	s_cbranch_execnz .LBB38_27
	s_branch .LBB38_28
.LBB38_46:
	s_endpgm
	.section	.rodata,"a",@progbits
	.p2align	6, 0x0
	.amdhsa_kernel _Z33kPreconditionOptimizer32bit1StateI6__halfLi1ELi4096ELi8EEvPT_S2_PfS3_ffffiffi
		.amdhsa_group_segment_fixed_size 16896
		.amdhsa_private_segment_fixed_size 0
		.amdhsa_kernarg_size 320
		.amdhsa_user_sgpr_count 15
		.amdhsa_user_sgpr_dispatch_ptr 0
		.amdhsa_user_sgpr_queue_ptr 0
		.amdhsa_user_sgpr_kernarg_segment_ptr 1
		.amdhsa_user_sgpr_dispatch_id 0
		.amdhsa_user_sgpr_private_segment_size 0
		.amdhsa_wavefront_size32 1
		.amdhsa_uses_dynamic_stack 0
		.amdhsa_enable_private_segment 0
		.amdhsa_system_sgpr_workgroup_id_x 1
		.amdhsa_system_sgpr_workgroup_id_y 0
		.amdhsa_system_sgpr_workgroup_id_z 0
		.amdhsa_system_sgpr_workgroup_info 0
		.amdhsa_system_vgpr_workitem_id 0
		.amdhsa_next_free_vgpr 67
		.amdhsa_next_free_sgpr 32
		.amdhsa_reserve_vcc 1
		.amdhsa_float_round_mode_32 0
		.amdhsa_float_round_mode_16_64 0
		.amdhsa_float_denorm_mode_32 3
		.amdhsa_float_denorm_mode_16_64 3
		.amdhsa_dx10_clamp 1
		.amdhsa_ieee_mode 1
		.amdhsa_fp16_overflow 0
		.amdhsa_workgroup_processor_mode 1
		.amdhsa_memory_ordered 1
		.amdhsa_forward_progress 0
		.amdhsa_shared_vgpr_count 0
		.amdhsa_exception_fp_ieee_invalid_op 0
		.amdhsa_exception_fp_denorm_src 0
		.amdhsa_exception_fp_ieee_div_zero 0
		.amdhsa_exception_fp_ieee_overflow 0
		.amdhsa_exception_fp_ieee_underflow 0
		.amdhsa_exception_fp_ieee_inexact 0
		.amdhsa_exception_int_div_zero 0
	.end_amdhsa_kernel
	.section	.text._Z33kPreconditionOptimizer32bit1StateI6__halfLi1ELi4096ELi8EEvPT_S2_PfS3_ffffiffi,"axG",@progbits,_Z33kPreconditionOptimizer32bit1StateI6__halfLi1ELi4096ELi8EEvPT_S2_PfS3_ffffiffi,comdat
.Lfunc_end38:
	.size	_Z33kPreconditionOptimizer32bit1StateI6__halfLi1ELi4096ELi8EEvPT_S2_PfS3_ffffiffi, .Lfunc_end38-_Z33kPreconditionOptimizer32bit1StateI6__halfLi1ELi4096ELi8EEvPT_S2_PfS3_ffffiffi
                                        ; -- End function
	.section	.AMDGPU.csdata,"",@progbits
; Kernel info:
; codeLenInByte = 2664
; NumSgprs: 34
; NumVgprs: 67
; ScratchSize: 0
; MemoryBound: 0
; FloatMode: 240
; IeeeMode: 1
; LDSByteSize: 16896 bytes/workgroup (compile time only)
; SGPRBlocks: 4
; VGPRBlocks: 8
; NumSGPRsForWavesPerEU: 34
; NumVGPRsForWavesPerEU: 67
; Occupancy: 16
; WaveLimiterHint : 0
; COMPUTE_PGM_RSRC2:SCRATCH_EN: 0
; COMPUTE_PGM_RSRC2:USER_SGPR: 15
; COMPUTE_PGM_RSRC2:TRAP_HANDLER: 0
; COMPUTE_PGM_RSRC2:TGID_X_EN: 1
; COMPUTE_PGM_RSRC2:TGID_Y_EN: 0
; COMPUTE_PGM_RSRC2:TGID_Z_EN: 0
; COMPUTE_PGM_RSRC2:TIDIG_COMP_CNT: 0
	.section	.text._Z33kPreconditionOptimizer32bit1StateIfLi1ELi4096ELi8EEvPT_S1_PfS2_ffffiffi,"axG",@progbits,_Z33kPreconditionOptimizer32bit1StateIfLi1ELi4096ELi8EEvPT_S1_PfS2_ffffiffi,comdat
